;; amdgpu-corpus repo=ROCm/rocFFT kind=compiled arch=gfx950 opt=O3
	.text
	.amdgcn_target "amdgcn-amd-amdhsa--gfx950"
	.amdhsa_code_object_version 6
	.protected	fft_rtc_fwd_len243_factors_3_3_3_3_3_wgs_216_tpt_27_dp_op_CI_CI_sbrc_z_xy_unaligned_dirReg ; -- Begin function fft_rtc_fwd_len243_factors_3_3_3_3_3_wgs_216_tpt_27_dp_op_CI_CI_sbrc_z_xy_unaligned_dirReg
	.globl	fft_rtc_fwd_len243_factors_3_3_3_3_3_wgs_216_tpt_27_dp_op_CI_CI_sbrc_z_xy_unaligned_dirReg
	.p2align	8
	.type	fft_rtc_fwd_len243_factors_3_3_3_3_3_wgs_216_tpt_27_dp_op_CI_CI_sbrc_z_xy_unaligned_dirReg,@function
fft_rtc_fwd_len243_factors_3_3_3_3_3_wgs_216_tpt_27_dp_op_CI_CI_sbrc_z_xy_unaligned_dirReg: ; @fft_rtc_fwd_len243_factors_3_3_3_3_3_wgs_216_tpt_27_dp_op_CI_CI_sbrc_z_xy_unaligned_dirReg
; %bb.0:
	s_load_dwordx8 s[4:11], s[0:1], 0x0
	s_waitcnt lgkmcnt(0)
	s_load_dwordx4 s[12:15], s[8:9], 0x8
	s_waitcnt lgkmcnt(0)
	s_add_i32 s3, s12, -1
	s_lshr_b32 s3, s3, 3
	s_add_i32 s8, s3, 1
	s_mul_i32 s9, s8, s14
	v_cvt_f32_u32_e32 v2, s9
	v_cvt_f32_u32_e32 v1, s8
	s_sub_i32 s13, 0, s9
	s_load_dwordx2 s[14:15], s[0:1], 0x20
	s_load_dwordx4 s[16:19], s[10:11], 0x0
	v_rcp_iflag_f32_e32 v2, v2
	v_rcp_iflag_f32_e32 v1, v1
	s_waitcnt lgkmcnt(0)
	s_load_dword s19, s[10:11], 0x10
	v_mul_f32_e32 v2, 0x4f7ffffe, v2
	v_cvt_u32_f32_e32 v2, v2
	v_mul_f32_e32 v1, 0x4f7ffffe, v1
	v_cvt_u32_f32_e32 v1, v1
	v_readfirstlane_b32 s21, v2
	s_mul_i32 s13, s13, s21
	s_mul_hi_u32 s13, s21, s13
	s_add_i32 s21, s21, s13
	s_mul_hi_u32 s13, s2, s21
	s_mul_i32 s21, s13, s9
	s_sub_i32 s21, s2, s21
	s_add_i32 s22, s13, 1
	s_sub_i32 s23, s21, s9
	s_cmp_ge_u32 s21, s9
	s_cselect_b32 s13, s22, s13
	s_cselect_b32 s21, s23, s21
	s_add_i32 s22, s13, 1
	s_cmp_ge_u32 s21, s9
	v_readfirstlane_b32 s20, v1
	s_cselect_b32 s13, s22, s13
	s_not_b32 s3, s3
	s_mul_i32 s3, s3, s20
	s_mul_i32 s9, s13, s9
	s_mul_hi_u32 s3, s20, s3
	s_sub_i32 s9, s2, s9
	s_add_i32 s20, s20, s3
	s_mul_hi_u32 s3, s9, s20
	s_mul_i32 s21, s3, s8
	s_sub_i32 s9, s9, s21
	s_add_i32 s22, s3, 1
	s_sub_i32 s21, s9, s8
	s_cmp_ge_u32 s9, s8
	s_cselect_b32 s3, s22, s3
	s_cselect_b32 s9, s21, s9
	s_add_i32 s21, s3, 1
	s_cmp_ge_u32 s9, s8
	s_cselect_b32 s28, s21, s3
	s_mul_hi_u32 s3, s2, s20
	s_mul_i32 s3, s3, s8
	s_sub_i32 s2, s2, s3
	s_sub_i32 s3, s2, s8
	s_cmp_ge_u32 s2, s8
	s_cselect_b32 s2, s3, s2
	s_sub_i32 s3, s2, s8
	s_cmp_ge_u32 s2, s8
	s_cselect_b32 s2, s3, s2
	s_lshl_b32 s29, s2, 3
	s_waitcnt lgkmcnt(0)
	s_mul_i32 s3, s28, s19
	s_mul_i32 s2, s29, s18
	s_add_i32 s19, s2, s3
	s_lshl_b64 s[6:7], s[6:7], 3
	s_add_u32 s22, s10, s6
	s_addc_u32 s23, s11, s7
	s_load_dwordx2 s[24:25], s[22:23], 0x0
	s_load_dwordx2 s[20:21], s[0:1], 0x58
	s_load_dwordx4 s[8:11], s[14:15], 0x0
	s_load_dwordx2 s[2:3], s[14:15], 0x10
	s_waitcnt lgkmcnt(0)
	s_mul_i32 s3, s25, s13
	s_mul_hi_u32 s11, s24, s13
	s_add_i32 s11, s11, s3
	s_mul_i32 s3, s24, s13
	s_add_u32 s22, s3, s19
	s_addc_u32 s23, s11, 0
	s_add_u32 s6, s14, s6
	s_addc_u32 s7, s15, s7
	s_load_dwordx2 s[6:7], s[6:7], 0x0
	s_add_i32 s3, s29, 8
	s_cmp_le_u32 s3, s12
	s_cselect_b64 s[14:15], -1, 0
	s_mov_b64 s[24:25], -1
	s_and_b64 vcc, exec, s[14:15]
	s_cbranch_vccnz .LBB0_4
; %bb.1:
	s_lshl_b64 s[24:25], s[22:23], 4
	s_add_u32 s24, s20, s24
	s_addc_u32 s25, s21, s25
	s_mov_b64 s[26:27], 0
	s_movk_i32 s3, 0xdb3
	v_mov_b32_e32 v3, 0
	s_movk_i32 s11, 0x797
	v_mov_b32_e32 v1, v0
.LBB0_2:                                ; =>This Inner Loop Header: Depth=1
	v_mul_u32_u24_sdwa v2, v1, s3 dst_sel:DWORD dst_unused:UNUSED_PAD src0_sel:WORD_0 src1_sel:DWORD
	v_sub_u16_sdwa v4, v1, v2 dst_sel:DWORD dst_unused:UNUSED_PAD src0_sel:DWORD src1_sel:WORD_1
	v_lshrrev_b16_e32 v4, 1, v4
	v_add_u16_sdwa v2, v4, v2 dst_sel:DWORD dst_unused:UNUSED_PAD src0_sel:DWORD src1_sel:WORD_1
	v_lshrrev_b16_e32 v8, 7, v2
	v_mul_lo_u16_e32 v4, 0xf3, v8
	v_sub_u16_e32 v9, v1, v4
	v_mad_u64_u32 v[4:5], s[30:31], s16, v9, 0
	v_mov_b32_e32 v6, v5
	v_mad_u64_u32 v[6:7], s[30:31], s17, v9, v[6:7]
	v_mov_b32_e32 v5, v6
	v_mul_lo_u32 v2, s18, v8
	v_lshl_add_u64 v[4:5], v[4:5], 4, s[24:25]
	v_lshl_add_u64 v[4:5], v[2:3], 4, v[4:5]
	global_load_dwordx4 v[4:7], v[4:5], off
	v_add_u32_e32 v1, 0xd8, v1
	v_lshlrev_b16_e32 v2, 3, v9
	v_cmp_lt_u32_e32 vcc, s11, v1
	v_add_u16_e32 v2, v2, v8
	s_or_b64 s[26:27], vcc, s[26:27]
	v_lshl_add_u32 v2, v2, 4, 0
	s_waitcnt vmcnt(0)
	ds_write_b128 v2, v[4:7]
	s_andn2_b64 exec, exec, s[26:27]
	s_cbranch_execnz .LBB0_2
; %bb.3:
	s_or_b64 exec, exec, s[26:27]
	s_mov_b64 s[24:25], 0
.LBB0_4:
	s_and_b64 vcc, exec, s[24:25]
	s_cbranch_vccz .LBB0_6
; %bb.5:
	v_mul_u32_u24_e32 v1, 0x10e, v0
	v_lshrrev_b32_e32 v1, 16, v1
	v_mul_lo_u16_e32 v2, 0xf3, v1
	v_sub_u16_e32 v40, v0, v2
	v_mad_u64_u32 v[2:3], s[24:25], s16, v40, 0
	v_mov_b32_e32 v4, v3
	s_lshl_b64 s[22:23], s[22:23], 4
	v_mad_u64_u32 v[4:5], s[24:25], s17, v40, v[4:5]
	s_add_u32 s20, s20, s22
	v_mov_b32_e32 v3, v4
	s_addc_u32 s21, s21, s23
	v_mul_lo_u32 v34, s18, v1
	v_mov_b32_e32 v35, 0
	v_lshl_add_u64 v[2:3], v[2:3], 4, s[20:21]
	v_lshl_add_u64 v[10:11], v[34:35], 4, v[2:3]
	v_add_u16_e32 v2, 0xd8, v0
	v_mul_u32_u24_e32 v3, 0x10e, v2
	v_lshrrev_b32_e32 v41, 16, v3
	v_mul_lo_u16_e32 v3, 0xf3, v41
	v_sub_u16_e32 v42, v2, v3
	v_mad_u64_u32 v[2:3], s[22:23], s16, v42, 0
	v_mov_b32_e32 v4, v3
	v_mad_u64_u32 v[4:5], s[22:23], s17, v42, v[4:5]
	v_mov_b32_e32 v3, v4
	v_mul_lo_u32 v34, s18, v41
	v_lshl_add_u64 v[2:3], v[2:3], 4, s[20:21]
	v_lshl_add_u64 v[12:13], v[34:35], 4, v[2:3]
	global_load_dwordx4 v[2:5], v[10:11], off
	global_load_dwordx4 v[6:9], v[12:13], off
	v_add_u16_e32 v10, 0x1b0, v0
	v_mul_u32_u24_e32 v11, 0x437, v10
	v_lshrrev_b32_e32 v43, 18, v11
	v_mul_lo_u16_e32 v11, 0xf3, v43
	v_sub_u16_e32 v44, v10, v11
	v_mad_u64_u32 v[10:11], s[22:23], s16, v44, 0
	v_mov_b32_e32 v12, v11
	v_mad_u64_u32 v[12:13], s[22:23], s17, v44, v[12:13]
	v_mov_b32_e32 v11, v12
	v_mul_lo_u32 v34, s18, v43
	v_lshl_add_u64 v[10:11], v[10:11], 4, s[20:21]
	v_lshl_add_u64 v[18:19], v[34:35], 4, v[10:11]
	v_add_u16_e32 v10, 0x288, v0
	v_mul_u32_u24_e32 v11, 0x437, v10
	v_lshrrev_b32_e32 v45, 18, v11
	v_mul_lo_u16_e32 v11, 0xf3, v45
	v_sub_u16_e32 v46, v10, v11
	v_mad_u64_u32 v[10:11], s[22:23], s16, v46, 0
	v_mov_b32_e32 v12, v11
	v_mad_u64_u32 v[12:13], s[22:23], s17, v46, v[12:13]
	v_mov_b32_e32 v11, v12
	v_mul_lo_u32 v34, s18, v45
	v_lshl_add_u64 v[10:11], v[10:11], 4, s[20:21]
	v_lshl_add_u64 v[20:21], v[34:35], 4, v[10:11]
	global_load_dwordx4 v[10:13], v[18:19], off
	global_load_dwordx4 v[14:17], v[20:21], off
	v_add_u16_e32 v18, 0x360, v0
	v_mul_u32_u24_e32 v19, 0x437, v18
	v_lshrrev_b32_e32 v47, 18, v19
	v_mul_lo_u16_e32 v19, 0xf3, v47
	v_sub_u16_e32 v48, v18, v19
	v_mad_u64_u32 v[18:19], s[22:23], s16, v48, 0
	v_mov_b32_e32 v20, v19
	v_mad_u64_u32 v[20:21], s[22:23], s17, v48, v[20:21]
	v_mov_b32_e32 v19, v20
	v_mul_lo_u32 v34, s18, v47
	;; [unrolled: 26-line block ×3, first 2 shown]
	v_lshl_add_u64 v[26:27], v[26:27], 4, s[20:21]
	v_lshl_add_u64 v[36:37], v[34:35], 4, v[26:27]
	v_add_u16_e32 v26, 0x5e8, v0
	v_mul_u32_u24_e32 v27, 0x437, v26
	v_lshrrev_b32_e32 v53, 18, v27
	v_mul_lo_u16_e32 v27, 0xf3, v53
	v_sub_u16_e32 v54, v26, v27
	v_mad_u64_u32 v[26:27], s[22:23], s16, v54, 0
	v_mov_b32_e32 v28, v27
	v_mad_u64_u32 v[28:29], s[22:23], s17, v54, v[28:29]
	v_mov_b32_e32 v27, v28
	v_mul_lo_u32 v34, s18, v53
	v_lshl_add_u64 v[26:27], v[26:27], 4, s[20:21]
	v_lshl_add_u64 v[38:39], v[34:35], 4, v[26:27]
	v_add_u16_e32 v34, 0x6c0, v0
	global_load_dwordx4 v[26:29], v[36:37], off
	global_load_dwordx4 v[30:33], v[38:39], off
	v_mul_u32_u24_e32 v36, 0x437, v34
	v_lshrrev_b32_e32 v55, 18, v36
	v_mul_lo_u16_e32 v36, 0xf3, v55
	v_sub_u16_e32 v56, v34, v36
	v_mad_u64_u32 v[36:37], s[22:23], s16, v56, 0
	v_mov_b32_e32 v34, v37
	v_mad_u64_u32 v[38:39], s[16:17], s17, v56, v[34:35]
	v_mov_b32_e32 v37, v38
	v_mul_lo_u32 v34, s18, v55
	v_lshl_add_u64 v[36:37], v[36:37], 4, s[20:21]
	v_lshl_add_u64 v[34:35], v[34:35], 4, v[36:37]
	global_load_dwordx4 v[34:37], v[34:35], off
	v_lshlrev_b16_e32 v38, 3, v40
	v_or_b32_e32 v1, v38, v1
	v_and_b32_e32 v1, 0xffff, v1
	v_lshl_add_u32 v1, v1, 4, 0
	s_waitcnt vmcnt(8)
	ds_write_b128 v1, v[2:5]
	v_lshlrev_b16_e32 v1, 3, v42
	v_or_b32_e32 v1, v1, v41
	v_and_b32_e32 v1, 0xffff, v1
	v_lshl_add_u32 v1, v1, 4, 0
	s_waitcnt vmcnt(7)
	ds_write_b128 v1, v[6:9]
	;; [unrolled: 6-line block ×4, first 2 shown]
	v_lshlrev_b16_e32 v1, 3, v48
	v_add_u16_e32 v1, v1, v47
	v_lshl_add_u32 v1, v1, 4, 0
	s_waitcnt vmcnt(4)
	ds_write_b128 v1, v[18:21]
	v_lshlrev_b16_e32 v1, 3, v50
	v_or_b32_e32 v1, v1, v49
	v_and_b32_e32 v1, 0xffff, v1
	v_lshl_add_u32 v1, v1, 4, 0
	s_waitcnt vmcnt(3)
	ds_write_b128 v1, v[22:25]
	v_lshlrev_b16_e32 v1, 3, v52
	v_add_u16_e32 v1, v1, v51
	v_lshl_add_u32 v1, v1, 4, 0
	s_waitcnt vmcnt(2)
	ds_write_b128 v1, v[26:29]
	v_lshlrev_b16_e32 v1, 3, v54
	v_add_u16_e32 v1, v1, v53
	v_lshl_add_u32 v1, v1, 4, 0
	s_waitcnt vmcnt(1)
	ds_write_b128 v1, v[30:33]
	v_lshlrev_b16_e32 v1, 3, v56
	v_add_u16_e32 v1, v1, v55
	v_lshl_add_u32 v1, v1, 4, 0
	s_waitcnt vmcnt(0)
	ds_write_b128 v1, v[34:37]
.LBB0_6:
	v_and_b32_e32 v1, 7, v0
	v_lshrrev_b32_e32 v5, 3, v0
	v_lshlrev_b32_e32 v2, 7, v5
	v_lshlrev_b32_e32 v8, 4, v1
	v_add3_u32 v4, 0, v2, v8
	s_waitcnt lgkmcnt(0)
	s_barrier
	ds_read_b128 v[10:13], v4
	ds_read_b128 v[14:17], v4 offset:3456
	ds_read_b128 v[18:21], v4 offset:20736
	;; [unrolled: 1-line block ×8, first 2 shown]
	s_waitcnt lgkmcnt(4)
	v_add_f64 v[2:3], v[10:11], v[26:27]
	v_add_f64 v[46:47], v[2:3], v[18:19]
	;; [unrolled: 1-line block ×3, first 2 shown]
	s_mov_b32 s16, 0xe8584caa
	v_fmac_f64_e32 v[10:11], -0.5, v[2:3]
	v_add_f64 v[2:3], v[28:29], -v[20:21]
	s_mov_b32 s17, 0x3febb67a
	s_mov_b32 s19, 0xbfebb67a
	;; [unrolled: 1-line block ×3, first 2 shown]
	v_fma_f64 v[50:51], s[16:17], v[2:3], v[10:11]
	v_fmac_f64_e32 v[10:11], s[18:19], v[2:3]
	v_add_f64 v[2:3], v[12:13], v[28:29]
	v_add_f64 v[48:49], v[2:3], v[20:21]
	;; [unrolled: 1-line block ×3, first 2 shown]
	v_fmac_f64_e32 v[12:13], -0.5, v[2:3]
	v_add_f64 v[2:3], v[26:27], -v[18:19]
	v_fma_f64 v[52:53], s[18:19], v[2:3], v[12:13]
	v_fmac_f64_e32 v[12:13], s[16:17], v[2:3]
	s_waitcnt lgkmcnt(2)
	v_add_f64 v[2:3], v[14:15], v[34:35]
	v_add_f64 v[18:19], v[2:3], v[22:23]
	;; [unrolled: 1-line block ×3, first 2 shown]
	v_fmac_f64_e32 v[14:15], -0.5, v[2:3]
	v_add_f64 v[2:3], v[36:37], -v[24:25]
	v_fma_f64 v[26:27], s[16:17], v[2:3], v[14:15]
	v_fmac_f64_e32 v[14:15], s[18:19], v[2:3]
	v_add_f64 v[2:3], v[16:17], v[36:37]
	v_add_f64 v[20:21], v[2:3], v[24:25]
	;; [unrolled: 1-line block ×3, first 2 shown]
	v_fmac_f64_e32 v[16:17], -0.5, v[2:3]
	v_add_f64 v[2:3], v[34:35], -v[22:23]
	v_fma_f64 v[28:29], s[18:19], v[2:3], v[16:17]
	v_fmac_f64_e32 v[16:17], s[16:17], v[2:3]
	s_waitcnt lgkmcnt(1)
	v_add_f64 v[2:3], v[30:31], v[38:39]
	s_waitcnt lgkmcnt(0)
	v_add_f64 v[22:23], v[2:3], v[42:43]
	v_add_f64 v[2:3], v[38:39], v[42:43]
	v_fmac_f64_e32 v[30:31], -0.5, v[2:3]
	v_add_f64 v[2:3], v[40:41], -v[44:45]
	v_fma_f64 v[6:7], s[16:17], v[2:3], v[30:31]
	v_fmac_f64_e32 v[30:31], s[18:19], v[2:3]
	v_add_f64 v[2:3], v[32:33], v[40:41]
	v_add_f64 v[24:25], v[2:3], v[44:45]
	;; [unrolled: 1-line block ×3, first 2 shown]
	v_fmac_f64_e32 v[32:33], -0.5, v[2:3]
	v_add_f64 v[2:3], v[38:39], -v[42:43]
	v_lshl_add_u32 v9, v5, 8, v4
	v_fma_f64 v[34:35], s[18:19], v[2:3], v[32:33]
	v_fmac_f64_e32 v[32:33], s[16:17], v[2:3]
	v_add_u32_e32 v2, 0x5000, v9
	s_mov_b32 s3, 0x55555556
	s_barrier
	ds_write_b128 v9, v[46:49]
	ds_write_b128 v9, v[50:53] offset:128
	ds_write_b128 v9, v[10:13] offset:256
	;; [unrolled: 1-line block ×6, first 2 shown]
	ds_write2_b64 v2, v[6:7], v[34:35] offset0:48 offset1:49
	ds_write2_b64 v2, v[30:31], v[32:33] offset0:64 offset1:65
	v_mul_hi_u32 v2, v5, s3
	v_lshl_add_u32 v2, v2, 1, v2
	v_sub_u32_e32 v64, v5, v2
	v_lshlrev_b32_e32 v2, 5, v64
	s_waitcnt lgkmcnt(0)
	s_barrier
	global_load_dwordx4 v[12:15], v2, s[4:5]
	global_load_dwordx4 v[16:19], v2, s[4:5] offset:16
	v_add_u32_e32 v6, 27, v5
	v_mul_hi_u32 v65, v6, s3
	v_mul_u32_u24_e32 v2, 3, v65
	v_sub_u32_e32 v66, v6, v2
	v_lshlrev_b32_e32 v2, 1, v66
	v_mov_b32_e32 v3, 0
	v_lshl_add_u64 v[10:11], v[2:3], 4, s[4:5]
	global_load_dwordx4 v[20:23], v[10:11], off
	global_load_dwordx4 v[24:27], v[10:11], off offset:16
	v_add_u32_e32 v7, 54, v5
	v_mul_hi_u32 v67, v7, s3
	v_mul_u32_u24_e32 v2, 3, v67
	v_sub_u32_e32 v68, v7, v2
	v_lshlrev_b32_e32 v2, 1, v68
	v_lshl_add_u64 v[10:11], v[2:3], 4, s[4:5]
	global_load_dwordx4 v[28:31], v[10:11], off
	global_load_dwordx4 v[32:35], v[10:11], off offset:16
	ds_read_b128 v[36:39], v4
	ds_read_b128 v[40:43], v4 offset:10368
	ds_read_b128 v[44:47], v4 offset:20736
	;; [unrolled: 1-line block ×3, first 2 shown]
	v_add_u32_e32 v2, 0x2880, v9
	v_add_u32_e32 v10, 0x5100, v9
	v_lshlrev_b32_e32 v9, 8, v6
	v_sub_u32_e32 v9, v2, v9
	v_lshlrev_b32_e32 v2, 8, v7
	s_mov_b32 s3, 0xaaaaaaab
	v_sub_u32_e32 v10, v10, v2
	v_mul_hi_u32 v2, v0, s3
	v_lshrrev_b32_e32 v2, 4, v2
	v_mul_u32_u24_e32 v2, 9, v2
	v_add_lshl_u32 v2, v2, v64, 7
	v_add3_u32 v2, 0, v2, v8
	s_mov_b32 s3, 0x1c71c71d
	s_mov_b32 s11, 0
	s_waitcnt vmcnt(5) lgkmcnt(2)
	v_mul_f64 v[52:53], v[42:43], v[14:15]
	v_fma_f64 v[52:53], v[40:41], v[12:13], -v[52:53]
	v_mul_f64 v[40:41], v[40:41], v[14:15]
	v_fmac_f64_e32 v[40:41], v[42:43], v[12:13]
	ds_read_b128 v[12:15], v4 offset:13824
	s_waitcnt vmcnt(4) lgkmcnt(2)
	v_mul_f64 v[42:43], v[46:47], v[18:19]
	v_fma_f64 v[42:43], v[44:45], v[16:17], -v[42:43]
	v_mul_f64 v[44:45], v[44:45], v[18:19]
	v_fmac_f64_e32 v[44:45], v[46:47], v[16:17]
	ds_read_b128 v[16:19], v4 offset:17280
	s_waitcnt vmcnt(3) lgkmcnt(1)
	v_mul_f64 v[46:47], v[14:15], v[22:23]
	v_fma_f64 v[46:47], v[12:13], v[20:21], -v[46:47]
	v_mul_f64 v[54:55], v[12:13], v[22:23]
	s_waitcnt vmcnt(2)
	v_mul_f64 v[12:13], v[50:51], v[26:27]
	v_fmac_f64_e32 v[54:55], v[14:15], v[20:21]
	v_fma_f64 v[56:57], v[48:49], v[24:25], -v[12:13]
	ds_read_b128 v[12:15], v9
	ds_read_b128 v[20:23], v4 offset:27648
	v_mul_f64 v[48:49], v[48:49], v[26:27]
	v_fmac_f64_e32 v[48:49], v[50:51], v[24:25]
	s_waitcnt vmcnt(1) lgkmcnt(2)
	v_mul_f64 v[24:25], v[18:19], v[30:31]
	v_mul_f64 v[58:59], v[16:17], v[30:31]
	v_fma_f64 v[50:51], v[16:17], v[28:29], -v[24:25]
	v_fmac_f64_e32 v[58:59], v[18:19], v[28:29]
	s_waitcnt vmcnt(0) lgkmcnt(0)
	v_mul_f64 v[16:17], v[22:23], v[34:35]
	v_mul_f64 v[62:63], v[20:21], v[34:35]
	v_add_f64 v[18:19], v[52:53], v[42:43]
	v_fma_f64 v[60:61], v[20:21], v[32:33], -v[16:17]
	v_fmac_f64_e32 v[62:63], v[22:23], v[32:33]
	v_add_f64 v[16:17], v[36:37], v[52:53]
	v_fmac_f64_e32 v[36:37], -0.5, v[18:19]
	v_add_f64 v[18:19], v[40:41], -v[44:45]
	v_add_f64 v[22:23], v[40:41], v[44:45]
	ds_read2_b64 v[32:35], v10 offset1:1
	v_fma_f64 v[20:21], s[16:17], v[18:19], v[36:37]
	v_fmac_f64_e32 v[36:37], s[18:19], v[18:19]
	v_add_f64 v[18:19], v[38:39], v[40:41]
	v_fmac_f64_e32 v[38:39], -0.5, v[22:23]
	v_add_f64 v[24:25], v[52:53], -v[42:43]
	v_add_f64 v[26:27], v[46:47], v[56:57]
	v_add_f64 v[16:17], v[16:17], v[42:43]
	;; [unrolled: 1-line block ×3, first 2 shown]
	v_fma_f64 v[22:23], s[18:19], v[24:25], v[38:39]
	v_fmac_f64_e32 v[38:39], s[16:17], v[24:25]
	v_add_f64 v[24:25], v[12:13], v[46:47]
	v_fmac_f64_e32 v[12:13], -0.5, v[26:27]
	v_add_f64 v[26:27], v[54:55], -v[48:49]
	v_add_f64 v[30:31], v[54:55], v[48:49]
	v_fma_f64 v[28:29], s[16:17], v[26:27], v[12:13]
	v_fmac_f64_e32 v[12:13], s[18:19], v[26:27]
	v_add_f64 v[26:27], v[14:15], v[54:55]
	v_fmac_f64_e32 v[14:15], -0.5, v[30:31]
	v_add_f64 v[40:41], v[46:47], -v[56:57]
	s_waitcnt lgkmcnt(0)
	s_barrier
	ds_write_b128 v2, v[16:19]
	ds_write_b128 v2, v[20:23] offset:384
	ds_write_b128 v2, v[36:39] offset:768
	v_mul_u32_u24_e32 v2, 9, v65
	v_fma_f64 v[30:31], s[18:19], v[40:41], v[14:15]
	v_fmac_f64_e32 v[14:15], s[16:17], v[40:41]
	v_add_f64 v[40:41], v[50:51], v[60:61]
	v_add_lshl_u32 v2, v2, v66, 7
	v_add_f64 v[24:25], v[24:25], v[56:57]
	v_add_f64 v[26:27], v[26:27], v[48:49]
	;; [unrolled: 1-line block ×3, first 2 shown]
	v_fma_f64 v[32:33], -0.5, v[40:41], v[32:33]
	v_add_f64 v[44:45], v[58:59], -v[62:63]
	v_add3_u32 v2, 0, v2, v8
	v_fma_f64 v[40:41], s[16:17], v[44:45], v[32:33]
	v_fmac_f64_e32 v[32:33], s[18:19], v[44:45]
	v_add_f64 v[44:45], v[42:43], v[60:61]
	v_add_f64 v[42:43], v[34:35], v[58:59]
	ds_write_b128 v2, v[24:27]
	ds_write_b128 v2, v[28:31] offset:384
	ds_write_b128 v2, v[12:15] offset:768
	v_mul_u32_u24_e32 v2, 9, v67
	v_add_f64 v[46:47], v[42:43], v[62:63]
	v_add_f64 v[42:43], v[58:59], v[62:63]
	v_add_lshl_u32 v2, v2, v68, 7
	v_fmac_f64_e32 v[34:35], -0.5, v[42:43]
	v_add_f64 v[48:49], v[50:51], -v[60:61]
	v_add3_u32 v2, 0, v2, v8
	v_fma_f64 v[42:43], s[18:19], v[48:49], v[34:35]
	v_fmac_f64_e32 v[34:35], s[16:17], v[48:49]
	ds_write_b128 v2, v[44:47]
	ds_write_b128 v2, v[40:43] offset:384
	ds_write_b128 v2, v[32:35] offset:768
	v_mul_hi_u32 v2, v5, s3
	v_lshl_add_u32 v2, v2, 3, v2
	v_sub_u32_e32 v11, v5, v2
	v_lshlrev_b32_e32 v2, 5, v11
	s_waitcnt lgkmcnt(0)
	s_barrier
	global_load_dwordx4 v[12:15], v2, s[4:5] offset:96
	global_load_dwordx4 v[16:19], v2, s[4:5] offset:112
	s_mov_b32 s3, 0x38e38e39
	v_mul_hi_u32 v2, v6, s3
	v_lshrrev_b32_e32 v64, 1, v2
	v_mul_u32_u24_e32 v2, 9, v64
	v_sub_u32_e32 v65, v6, v2
	v_lshlrev_b32_e32 v2, 1, v65
	v_lshl_add_u64 v[28:29], v[2:3], 4, s[4:5]
	global_load_dwordx4 v[20:23], v[28:29], off offset:96
	global_load_dwordx4 v[24:27], v[28:29], off offset:112
	v_mul_hi_u32 v2, v7, s3
	v_lshrrev_b32_e32 v66, 1, v2
	v_mul_u32_u24_e32 v2, 9, v66
	v_sub_u32_e32 v67, v7, v2
	v_lshlrev_b32_e32 v2, 1, v67
	v_lshl_add_u64 v[36:37], v[2:3], 4, s[4:5]
	global_load_dwordx4 v[28:31], v[36:37], off offset:96
	global_load_dwordx4 v[32:35], v[36:37], off offset:112
	ds_read_b128 v[36:39], v4 offset:10368
	ds_read_b128 v[40:43], v4
	ds_read_b128 v[44:47], v4 offset:20736
	ds_read_b128 v[48:51], v4 offset:24192
	v_mul_hi_u32 v0, v0, s3
	v_lshrrev_b32_e32 v0, 4, v0
	v_mul_u32_u24_e32 v0, 27, v0
	v_add_lshl_u32 v0, v0, v11, 7
	v_add3_u32 v0, 0, v0, v8
	s_mov_b32 s3, 0x97b425f
	s_waitcnt vmcnt(5) lgkmcnt(3)
	v_mul_f64 v[52:53], v[38:39], v[14:15]
	v_fma_f64 v[52:53], v[36:37], v[12:13], -v[52:53]
	v_mul_f64 v[36:37], v[36:37], v[14:15]
	v_fmac_f64_e32 v[36:37], v[38:39], v[12:13]
	ds_read_b128 v[12:15], v4 offset:13824
	s_waitcnt vmcnt(4) lgkmcnt(2)
	v_mul_f64 v[38:39], v[46:47], v[18:19]
	v_fma_f64 v[38:39], v[44:45], v[16:17], -v[38:39]
	v_mul_f64 v[44:45], v[44:45], v[18:19]
	v_fmac_f64_e32 v[44:45], v[46:47], v[16:17]
	ds_read_b128 v[16:19], v4 offset:17280
	s_waitcnt vmcnt(3) lgkmcnt(1)
	v_mul_f64 v[46:47], v[14:15], v[22:23]
	v_fma_f64 v[46:47], v[12:13], v[20:21], -v[46:47]
	v_mul_f64 v[54:55], v[12:13], v[22:23]
	s_waitcnt vmcnt(2)
	v_mul_f64 v[12:13], v[50:51], v[26:27]
	v_fmac_f64_e32 v[54:55], v[14:15], v[20:21]
	v_fma_f64 v[56:57], v[48:49], v[24:25], -v[12:13]
	ds_read_b128 v[12:15], v9
	ds_read_b128 v[20:23], v4 offset:27648
	v_mul_f64 v[48:49], v[48:49], v[26:27]
	v_fmac_f64_e32 v[48:49], v[50:51], v[24:25]
	s_waitcnt vmcnt(1) lgkmcnt(2)
	v_mul_f64 v[24:25], v[18:19], v[30:31]
	v_mul_f64 v[58:59], v[16:17], v[30:31]
	v_fma_f64 v[50:51], v[16:17], v[28:29], -v[24:25]
	v_fmac_f64_e32 v[58:59], v[18:19], v[28:29]
	s_waitcnt vmcnt(0) lgkmcnt(0)
	v_mul_f64 v[16:17], v[22:23], v[34:35]
	v_mul_f64 v[62:63], v[20:21], v[34:35]
	v_add_f64 v[18:19], v[52:53], v[38:39]
	v_fma_f64 v[60:61], v[20:21], v[32:33], -v[16:17]
	v_fmac_f64_e32 v[62:63], v[22:23], v[32:33]
	v_add_f64 v[16:17], v[40:41], v[52:53]
	v_fmac_f64_e32 v[40:41], -0.5, v[18:19]
	v_add_f64 v[18:19], v[36:37], -v[44:45]
	v_add_f64 v[22:23], v[36:37], v[44:45]
	ds_read2_b64 v[32:35], v10 offset1:1
	v_fma_f64 v[20:21], s[16:17], v[18:19], v[40:41]
	v_fmac_f64_e32 v[40:41], s[18:19], v[18:19]
	v_add_f64 v[18:19], v[42:43], v[36:37]
	v_fmac_f64_e32 v[42:43], -0.5, v[22:23]
	v_add_f64 v[24:25], v[52:53], -v[38:39]
	v_add_f64 v[26:27], v[46:47], v[56:57]
	v_add_f64 v[16:17], v[16:17], v[38:39]
	;; [unrolled: 1-line block ×3, first 2 shown]
	v_fma_f64 v[22:23], s[18:19], v[24:25], v[42:43]
	v_fmac_f64_e32 v[42:43], s[16:17], v[24:25]
	v_add_f64 v[24:25], v[12:13], v[46:47]
	v_fmac_f64_e32 v[12:13], -0.5, v[26:27]
	v_add_f64 v[26:27], v[54:55], -v[48:49]
	v_add_f64 v[30:31], v[54:55], v[48:49]
	v_fma_f64 v[28:29], s[16:17], v[26:27], v[12:13]
	v_fmac_f64_e32 v[12:13], s[18:19], v[26:27]
	v_add_f64 v[26:27], v[14:15], v[54:55]
	v_fmac_f64_e32 v[14:15], -0.5, v[30:31]
	v_add_f64 v[36:37], v[46:47], -v[56:57]
	s_waitcnt lgkmcnt(0)
	s_barrier
	ds_write_b128 v0, v[16:19]
	ds_write_b128 v0, v[20:23] offset:1152
	ds_write_b128 v0, v[40:43] offset:2304
	v_mul_u32_u24_e32 v0, 27, v64
	v_fma_f64 v[30:31], s[18:19], v[36:37], v[14:15]
	v_fmac_f64_e32 v[14:15], s[16:17], v[36:37]
	v_add_f64 v[36:37], v[50:51], v[60:61]
	v_add_lshl_u32 v0, v0, v65, 7
	v_add_f64 v[24:25], v[24:25], v[56:57]
	v_add_f64 v[26:27], v[26:27], v[48:49]
	;; [unrolled: 1-line block ×3, first 2 shown]
	v_fma_f64 v[32:33], -0.5, v[36:37], v[32:33]
	v_add_f64 v[44:45], v[58:59], -v[62:63]
	v_add3_u32 v0, 0, v0, v8
	v_fma_f64 v[36:37], s[16:17], v[44:45], v[32:33]
	v_fmac_f64_e32 v[32:33], s[18:19], v[44:45]
	v_add_f64 v[44:45], v[38:39], v[60:61]
	v_add_f64 v[38:39], v[34:35], v[58:59]
	ds_write_b128 v0, v[24:27]
	ds_write_b128 v0, v[28:31] offset:1152
	ds_write_b128 v0, v[12:15] offset:2304
	v_mul_u32_u24_e32 v0, 27, v66
	v_add_f64 v[46:47], v[38:39], v[62:63]
	v_add_f64 v[38:39], v[58:59], v[62:63]
	v_add_lshl_u32 v0, v0, v67, 7
	v_fmac_f64_e32 v[34:35], -0.5, v[38:39]
	v_add_f64 v[48:49], v[50:51], -v[60:61]
	v_add3_u32 v0, 0, v0, v8
	v_fma_f64 v[38:39], s[18:19], v[48:49], v[34:35]
	v_fmac_f64_e32 v[34:35], s[16:17], v[48:49]
	ds_write_b128 v0, v[44:47]
	ds_write_b128 v0, v[36:39] offset:1152
	ds_write_b128 v0, v[32:35] offset:2304
	v_mul_hi_u32 v0, v5, s3
	v_mul_lo_u32 v2, v0, 27
	v_sub_u32_e32 v11, v5, v2
	v_lshlrev_b32_e32 v2, 5, v11
	s_waitcnt lgkmcnt(0)
	s_barrier
	global_load_dwordx4 v[12:15], v2, s[4:5] offset:384
	global_load_dwordx4 v[16:19], v2, s[4:5] offset:400
	s_mov_b32 s3, 0x4bda12f7
	v_mul_hi_u32 v2, v6, s3
	v_lshrrev_b32_e32 v64, 3, v2
	v_mul_u32_u24_e32 v2, 27, v64
	v_sub_u32_e32 v65, v6, v2
	v_lshlrev_b32_e32 v2, 1, v65
	v_lshl_add_u64 v[28:29], v[2:3], 4, s[4:5]
	global_load_dwordx4 v[20:23], v[28:29], off offset:384
	global_load_dwordx4 v[24:27], v[28:29], off offset:400
	v_mul_hi_u32 v2, v7, s3
	v_lshrrev_b32_e32 v66, 3, v2
	v_mul_u32_u24_e32 v2, 27, v66
	v_sub_u32_e32 v67, v7, v2
	v_lshlrev_b32_e32 v2, 1, v67
	v_lshl_add_u64 v[36:37], v[2:3], 4, s[4:5]
	global_load_dwordx4 v[28:31], v[36:37], off offset:384
	global_load_dwordx4 v[32:35], v[36:37], off offset:400
	ds_read_b128 v[36:39], v4 offset:10368
	ds_read_b128 v[40:43], v4
	ds_read_b128 v[44:47], v4 offset:20736
	ds_read_b128 v[48:51], v4 offset:24192
	v_mul_u32_u24_e32 v0, 0x51, v0
	v_add_lshl_u32 v0, v0, v11, 7
	v_add3_u32 v0, 0, v0, v8
	s_waitcnt vmcnt(5) lgkmcnt(3)
	v_mul_f64 v[52:53], v[38:39], v[14:15]
	v_fma_f64 v[52:53], v[36:37], v[12:13], -v[52:53]
	v_mul_f64 v[36:37], v[36:37], v[14:15]
	v_fmac_f64_e32 v[36:37], v[38:39], v[12:13]
	ds_read_b128 v[12:15], v4 offset:13824
	s_waitcnt vmcnt(4) lgkmcnt(2)
	v_mul_f64 v[38:39], v[46:47], v[18:19]
	v_fma_f64 v[38:39], v[44:45], v[16:17], -v[38:39]
	v_mul_f64 v[44:45], v[44:45], v[18:19]
	v_fmac_f64_e32 v[44:45], v[46:47], v[16:17]
	ds_read_b128 v[16:19], v4 offset:17280
	s_waitcnt vmcnt(3) lgkmcnt(1)
	v_mul_f64 v[46:47], v[14:15], v[22:23]
	v_fma_f64 v[46:47], v[12:13], v[20:21], -v[46:47]
	v_mul_f64 v[54:55], v[12:13], v[22:23]
	s_waitcnt vmcnt(2)
	v_mul_f64 v[12:13], v[50:51], v[26:27]
	v_fmac_f64_e32 v[54:55], v[14:15], v[20:21]
	v_fma_f64 v[56:57], v[48:49], v[24:25], -v[12:13]
	ds_read_b128 v[12:15], v9
	ds_read_b128 v[20:23], v4 offset:27648
	v_mul_f64 v[48:49], v[48:49], v[26:27]
	v_fmac_f64_e32 v[48:49], v[50:51], v[24:25]
	s_waitcnt vmcnt(1) lgkmcnt(2)
	v_mul_f64 v[24:25], v[18:19], v[30:31]
	v_mul_f64 v[58:59], v[16:17], v[30:31]
	v_fma_f64 v[50:51], v[16:17], v[28:29], -v[24:25]
	v_fmac_f64_e32 v[58:59], v[18:19], v[28:29]
	s_waitcnt vmcnt(0) lgkmcnt(0)
	v_mul_f64 v[16:17], v[22:23], v[34:35]
	v_mul_f64 v[62:63], v[20:21], v[34:35]
	v_add_f64 v[18:19], v[52:53], v[38:39]
	v_fma_f64 v[60:61], v[20:21], v[32:33], -v[16:17]
	v_fmac_f64_e32 v[62:63], v[22:23], v[32:33]
	v_add_f64 v[16:17], v[40:41], v[52:53]
	v_fmac_f64_e32 v[40:41], -0.5, v[18:19]
	v_add_f64 v[18:19], v[36:37], -v[44:45]
	v_add_f64 v[22:23], v[36:37], v[44:45]
	ds_read2_b64 v[32:35], v10 offset1:1
	v_fma_f64 v[20:21], s[16:17], v[18:19], v[40:41]
	v_fmac_f64_e32 v[40:41], s[18:19], v[18:19]
	v_add_f64 v[18:19], v[42:43], v[36:37]
	v_fmac_f64_e32 v[42:43], -0.5, v[22:23]
	v_add_f64 v[24:25], v[52:53], -v[38:39]
	v_add_f64 v[26:27], v[46:47], v[56:57]
	v_add_f64 v[16:17], v[16:17], v[38:39]
	v_add_f64 v[18:19], v[18:19], v[44:45]
	v_fma_f64 v[22:23], s[18:19], v[24:25], v[42:43]
	v_fmac_f64_e32 v[42:43], s[16:17], v[24:25]
	v_add_f64 v[24:25], v[12:13], v[46:47]
	v_fmac_f64_e32 v[12:13], -0.5, v[26:27]
	v_add_f64 v[26:27], v[54:55], -v[48:49]
	v_add_f64 v[30:31], v[54:55], v[48:49]
	v_fma_f64 v[28:29], s[16:17], v[26:27], v[12:13]
	v_fmac_f64_e32 v[12:13], s[18:19], v[26:27]
	v_add_f64 v[26:27], v[14:15], v[54:55]
	v_fmac_f64_e32 v[14:15], -0.5, v[30:31]
	v_add_f64 v[36:37], v[46:47], -v[56:57]
	s_waitcnt lgkmcnt(0)
	s_barrier
	ds_write_b128 v0, v[16:19]
	ds_write_b128 v0, v[20:23] offset:3456
	ds_write_b128 v0, v[40:43] offset:6912
	v_mul_u32_u24_e32 v0, 0x51, v64
	v_fma_f64 v[30:31], s[18:19], v[36:37], v[14:15]
	v_fmac_f64_e32 v[14:15], s[16:17], v[36:37]
	v_add_f64 v[36:37], v[50:51], v[60:61]
	v_add_lshl_u32 v0, v0, v65, 7
	v_add_f64 v[24:25], v[24:25], v[56:57]
	v_add_f64 v[26:27], v[26:27], v[48:49]
	v_add_f64 v[38:39], v[32:33], v[50:51]
	v_fma_f64 v[32:33], -0.5, v[36:37], v[32:33]
	v_add_f64 v[44:45], v[58:59], -v[62:63]
	v_add3_u32 v0, 0, v0, v8
	v_fma_f64 v[36:37], s[16:17], v[44:45], v[32:33]
	v_fmac_f64_e32 v[32:33], s[18:19], v[44:45]
	v_add_f64 v[44:45], v[38:39], v[60:61]
	v_add_f64 v[38:39], v[34:35], v[58:59]
	ds_write_b128 v0, v[24:27]
	ds_write_b128 v0, v[28:31] offset:3456
	ds_write_b128 v0, v[12:15] offset:6912
	v_mul_u32_u24_e32 v0, 0x51, v66
	v_add_f64 v[46:47], v[38:39], v[62:63]
	v_add_f64 v[38:39], v[58:59], v[62:63]
	v_add_lshl_u32 v0, v0, v67, 7
	v_fmac_f64_e32 v[34:35], -0.5, v[38:39]
	v_add_f64 v[48:49], v[50:51], -v[60:61]
	v_add3_u32 v0, 0, v0, v8
	v_fma_f64 v[38:39], s[18:19], v[48:49], v[34:35]
	v_fmac_f64_e32 v[34:35], s[16:17], v[48:49]
	ds_write_b128 v0, v[44:47]
	ds_write_b128 v0, v[36:39] offset:3456
	ds_write_b128 v0, v[32:35] offset:6912
	v_or_b32_e32 v0, s29, v1
	v_cmp_gt_u32_e32 vcc, s12, v0
	s_or_b64 s[14:15], s[14:15], vcc
	s_waitcnt lgkmcnt(0)
	s_barrier
	s_and_saveexec_b64 s[20:21], s[14:15]
	s_cbranch_execz .LBB0_8
; %bb.7:
	s_mov_b32 s3, 0x1948b0fd
	v_mul_hi_u32 v0, v7, s3
	v_lshrrev_b32_e32 v62, 3, v0
	v_mul_u32_u24_e32 v0, 0x51, v62
	v_sub_u32_e32 v0, v7, v0
	v_lshlrev_b32_e32 v2, 1, v0
	v_lshl_add_u64 v[20:21], v[2:3], 4, s[4:5]
	v_mul_hi_u32 v0, v6, s3
	global_load_dwordx4 v[12:15], v[20:21], off offset:1248
	global_load_dwordx4 v[16:19], v[20:21], off offset:1264
	v_lshrrev_b32_e32 v63, 3, v0
	v_mul_u32_u24_e32 v0, 0x51, v63
	v_sub_u32_e32 v0, v6, v0
	v_lshlrev_b32_e32 v2, 1, v0
	v_lshl_add_u64 v[28:29], v[2:3], 4, s[4:5]
	global_load_dwordx4 v[20:23], v[28:29], off offset:1248
	global_load_dwordx4 v[24:27], v[28:29], off offset:1264
	v_mul_hi_u32 v0, v5, s3
	v_lshrrev_b32_e32 v0, 3, v0
	v_mul_u32_u24_e32 v0, 0x51, v0
	v_sub_u32_e32 v2, v5, v0
	v_lshlrev_b32_e32 v0, 5, v2
	global_load_dwordx4 v[28:31], v0, s[4:5] offset:1248
	global_load_dwordx4 v[32:35], v0, s[4:5] offset:1264
	ds_read_b128 v[36:39], v4 offset:17280
	ds_read_b128 v[40:43], v4 offset:27648
	ds_read2_b64 v[44:47], v10 offset1:1
	ds_read_b128 v[48:51], v4 offset:13824
	ds_read_b128 v[8:11], v9
	s_load_dwordx2 s[0:1], s[0:1], 0x60
	s_mul_i32 s3, s9, s29
	s_mul_hi_u32 s5, s8, s29
	s_mul_i32 s7, s7, s13
	s_mul_hi_u32 s14, s6, s13
	s_mul_i32 s4, s6, s13
	s_add_i32 s13, s5, s3
	s_add_i32 s5, s14, s7
	s_mul_i32 s12, s8, s29
	s_mul_i32 s10, s28, s10
	v_mul_lo_u32 v2, v2, s2
	s_waitcnt vmcnt(5) lgkmcnt(0)
	v_mul_f64 v[52:53], v[38:39], v[14:15]
	s_waitcnt vmcnt(4)
	v_mul_f64 v[54:55], v[42:43], v[18:19]
	v_mul_f64 v[56:57], v[36:37], v[14:15]
	;; [unrolled: 1-line block ×3, first 2 shown]
	v_fma_f64 v[52:53], v[36:37], v[12:13], -v[52:53]
	v_fmac_f64_e32 v[56:57], v[38:39], v[12:13]
	v_fma_f64 v[40:41], v[40:41], v[16:17], -v[54:55]
	v_fmac_f64_e32 v[58:59], v[42:43], v[16:17]
	ds_read_b128 v[12:15], v4 offset:24192
	ds_read_b128 v[16:19], v4 offset:20736
	s_waitcnt vmcnt(3)
	v_mul_f64 v[36:37], v[50:51], v[22:23]
	v_mul_f64 v[54:55], v[48:49], v[22:23]
	v_fma_f64 v[48:49], v[48:49], v[20:21], -v[36:37]
	v_fmac_f64_e32 v[54:55], v[50:51], v[20:21]
	ds_read_b128 v[20:23], v4 offset:10368
	ds_read_b128 v[36:39], v4
	s_waitcnt vmcnt(2) lgkmcnt(3)
	v_mul_f64 v[4:5], v[14:15], v[26:27]
	v_mul_f64 v[50:51], v[12:13], v[26:27]
	v_fma_f64 v[4:5], v[12:13], v[24:25], -v[4:5]
	v_fmac_f64_e32 v[50:51], v[14:15], v[24:25]
	v_add_f64 v[12:13], v[56:57], v[58:59]
	v_add_f64 v[24:25], v[52:53], v[40:41]
	v_fma_f64 v[14:15], -0.5, v[12:13], v[46:47]
	v_fma_f64 v[12:13], -0.5, v[24:25], v[44:45]
	v_add_f64 v[24:25], v[46:47], v[56:57]
	v_add_f64 v[42:43], v[44:45], v[52:53]
	v_add_f64 v[60:61], v[52:53], -v[40:41]
	v_add_f64 v[26:27], v[24:25], v[58:59]
	v_add_f64 v[24:25], v[42:43], v[40:41]
	v_add_f64 v[40:41], v[54:55], v[50:51]
	v_add_f64 v[52:53], v[48:49], v[4:5]
	v_add_f64 v[46:47], v[56:57], -v[58:59]
	v_add_f64 v[44:45], v[10:11], v[54:55]
	v_fma_f64 v[42:43], -0.5, v[40:41], v[10:11]
	v_fma_f64 v[40:41], -0.5, v[52:53], v[8:9]
	v_add_f64 v[52:53], v[8:9], v[48:49]
	s_waitcnt vmcnt(1) lgkmcnt(1)
	v_mul_f64 v[56:57], v[22:23], v[30:31]
	v_fma_f64 v[8:9], s[18:19], v[46:47], v[12:13]
	v_fmac_f64_e32 v[12:13], s[16:17], v[46:47]
	v_add_f64 v[48:49], v[48:49], -v[4:5]
	v_add_f64 v[46:47], v[44:45], v[50:51]
	v_add_f64 v[44:45], v[52:53], v[4:5]
	v_mul_f64 v[4:5], v[20:21], v[30:31]
	v_fma_f64 v[52:53], v[20:21], v[28:29], -v[56:57]
	v_fmac_f64_e32 v[4:5], v[22:23], v[28:29]
	s_waitcnt vmcnt(0)
	v_mul_f64 v[28:29], v[16:17], v[34:35]
	v_mul_f64 v[58:59], v[18:19], v[34:35]
	v_fmac_f64_e32 v[28:29], v[18:19], v[32:33]
	v_fma_f64 v[56:57], v[16:17], v[32:33], -v[58:59]
	v_add_f64 v[16:17], v[4:5], v[28:29]
	s_waitcnt lgkmcnt(0)
	v_fma_f64 v[18:19], -0.5, v[16:17], v[38:39]
	v_add_f64 v[16:17], v[38:39], v[4:5]
	v_add_f64 v[30:31], v[16:17], v[28:29]
	;; [unrolled: 1-line block ×3, first 2 shown]
	v_add_f64 v[20:21], v[52:53], -v[56:57]
	v_fma_f64 v[16:17], -0.5, v[16:17], v[36:37]
	v_add_f64 v[4:5], v[4:5], -v[28:29]
	v_fma_f64 v[22:23], s[16:17], v[20:21], v[18:19]
	v_fmac_f64_e32 v[18:19], s[18:19], v[20:21]
	v_fma_f64 v[20:21], s[18:19], v[4:5], v[16:17]
	v_fmac_f64_e32 v[16:17], s[16:17], v[4:5]
	v_add_f64 v[4:5], v[36:37], v[52:53]
	v_add_f64 v[28:29], v[4:5], v[56:57]
	v_mad_u64_u32 v[4:5], s[6:7], s8, v1, 0
	v_mov_b32_e32 v0, v5
	v_mad_u64_u32 v[0:1], s[6:7], s9, v1, v[0:1]
	s_lshl_b64 s[6:7], s[12:13], 4
	s_add_u32 s3, s0, s6
	s_addc_u32 s6, s1, s7
	s_lshl_b64 s[0:1], s[10:11], 4
	s_add_u32 s3, s3, s0
	s_addc_u32 s6, s6, s1
	s_lshl_b64 s[0:1], s[4:5], 4
	s_add_u32 s0, s3, s0
	v_mov_b32_e32 v5, v0
	s_addc_u32 s1, s6, s1
	v_lshl_add_u64 v[0:1], v[4:5], 4, s[0:1]
	s_mul_i32 s0, s2, 0x51
	v_lshl_add_u64 v[4:5], v[2:3], 4, v[0:1]
	v_add_u32_e32 v2, s0, v2
	global_store_dwordx4 v[4:5], v[28:31], off
	v_lshl_add_u64 v[4:5], v[2:3], 4, v[0:1]
	v_add_u32_e32 v2, s0, v2
	s_movk_i32 s1, 0xa2
	global_store_dwordx4 v[4:5], v[16:19], off
	v_lshl_add_u64 v[4:5], v[2:3], 4, v[0:1]
	v_mad_u32_u24 v2, v63, s1, v6
	v_mul_lo_u32 v2, v2, s2
	v_add_f64 v[54:55], v[54:55], -v[50:51]
	global_store_dwordx4 v[4:5], v[20:23], off
	v_lshl_add_u64 v[4:5], v[2:3], 4, v[0:1]
	v_add_u32_e32 v2, s0, v2
	v_fma_f64 v[50:51], s[16:17], v[48:49], v[42:43]
	v_fmac_f64_e32 v[42:43], s[18:19], v[48:49]
	v_fma_f64 v[48:49], s[18:19], v[54:55], v[40:41]
	v_fmac_f64_e32 v[40:41], s[16:17], v[54:55]
	global_store_dwordx4 v[4:5], v[44:47], off
	v_lshl_add_u64 v[4:5], v[2:3], 4, v[0:1]
	v_add_u32_e32 v2, s0, v2
	global_store_dwordx4 v[4:5], v[40:43], off
	v_lshl_add_u64 v[4:5], v[2:3], 4, v[0:1]
	v_mad_u32_u24 v2, v62, s1, v7
	v_mul_lo_u32 v2, v2, s2
	global_store_dwordx4 v[4:5], v[48:51], off
	v_lshl_add_u64 v[4:5], v[2:3], 4, v[0:1]
	v_add_u32_e32 v2, s0, v2
	global_store_dwordx4 v[4:5], v[24:27], off
	v_lshl_add_u64 v[4:5], v[2:3], 4, v[0:1]
	v_add_u32_e32 v2, s0, v2
	v_fma_f64 v[10:11], s[16:17], v[60:61], v[14:15]
	v_fmac_f64_e32 v[14:15], s[18:19], v[60:61]
	v_lshl_add_u64 v[0:1], v[2:3], 4, v[0:1]
	global_store_dwordx4 v[4:5], v[12:15], off
	global_store_dwordx4 v[0:1], v[8:11], off
.LBB0_8:
	s_endpgm
	.section	.rodata,"a",@progbits
	.p2align	6, 0x0
	.amdhsa_kernel fft_rtc_fwd_len243_factors_3_3_3_3_3_wgs_216_tpt_27_dp_op_CI_CI_sbrc_z_xy_unaligned_dirReg
		.amdhsa_group_segment_fixed_size 0
		.amdhsa_private_segment_fixed_size 0
		.amdhsa_kernarg_size 104
		.amdhsa_user_sgpr_count 2
		.amdhsa_user_sgpr_dispatch_ptr 0
		.amdhsa_user_sgpr_queue_ptr 0
		.amdhsa_user_sgpr_kernarg_segment_ptr 1
		.amdhsa_user_sgpr_dispatch_id 0
		.amdhsa_user_sgpr_kernarg_preload_length 0
		.amdhsa_user_sgpr_kernarg_preload_offset 0
		.amdhsa_user_sgpr_private_segment_size 0
		.amdhsa_uses_dynamic_stack 0
		.amdhsa_enable_private_segment 0
		.amdhsa_system_sgpr_workgroup_id_x 1
		.amdhsa_system_sgpr_workgroup_id_y 0
		.amdhsa_system_sgpr_workgroup_id_z 0
		.amdhsa_system_sgpr_workgroup_info 0
		.amdhsa_system_vgpr_workitem_id 0
		.amdhsa_next_free_vgpr 69
		.amdhsa_next_free_sgpr 32
		.amdhsa_accum_offset 72
		.amdhsa_reserve_vcc 1
		.amdhsa_float_round_mode_32 0
		.amdhsa_float_round_mode_16_64 0
		.amdhsa_float_denorm_mode_32 3
		.amdhsa_float_denorm_mode_16_64 3
		.amdhsa_dx10_clamp 1
		.amdhsa_ieee_mode 1
		.amdhsa_fp16_overflow 0
		.amdhsa_tg_split 0
		.amdhsa_exception_fp_ieee_invalid_op 0
		.amdhsa_exception_fp_denorm_src 0
		.amdhsa_exception_fp_ieee_div_zero 0
		.amdhsa_exception_fp_ieee_overflow 0
		.amdhsa_exception_fp_ieee_underflow 0
		.amdhsa_exception_fp_ieee_inexact 0
		.amdhsa_exception_int_div_zero 0
	.end_amdhsa_kernel
	.text
.Lfunc_end0:
	.size	fft_rtc_fwd_len243_factors_3_3_3_3_3_wgs_216_tpt_27_dp_op_CI_CI_sbrc_z_xy_unaligned_dirReg, .Lfunc_end0-fft_rtc_fwd_len243_factors_3_3_3_3_3_wgs_216_tpt_27_dp_op_CI_CI_sbrc_z_xy_unaligned_dirReg
                                        ; -- End function
	.section	.AMDGPU.csdata,"",@progbits
; Kernel info:
; codeLenInByte = 5976
; NumSgprs: 38
; NumVgprs: 69
; NumAgprs: 0
; TotalNumVgprs: 69
; ScratchSize: 0
; MemoryBound: 0
; FloatMode: 240
; IeeeMode: 1
; LDSByteSize: 0 bytes/workgroup (compile time only)
; SGPRBlocks: 4
; VGPRBlocks: 8
; NumSGPRsForWavesPerEU: 38
; NumVGPRsForWavesPerEU: 69
; AccumOffset: 72
; Occupancy: 7
; WaveLimiterHint : 1
; COMPUTE_PGM_RSRC2:SCRATCH_EN: 0
; COMPUTE_PGM_RSRC2:USER_SGPR: 2
; COMPUTE_PGM_RSRC2:TRAP_HANDLER: 0
; COMPUTE_PGM_RSRC2:TGID_X_EN: 1
; COMPUTE_PGM_RSRC2:TGID_Y_EN: 0
; COMPUTE_PGM_RSRC2:TGID_Z_EN: 0
; COMPUTE_PGM_RSRC2:TIDIG_COMP_CNT: 0
; COMPUTE_PGM_RSRC3_GFX90A:ACCUM_OFFSET: 17
; COMPUTE_PGM_RSRC3_GFX90A:TG_SPLIT: 0
	.text
	.p2alignl 6, 3212836864
	.fill 256, 4, 3212836864
	.type	__hip_cuid_c32cfb920bd0f25f,@object ; @__hip_cuid_c32cfb920bd0f25f
	.section	.bss,"aw",@nobits
	.globl	__hip_cuid_c32cfb920bd0f25f
__hip_cuid_c32cfb920bd0f25f:
	.byte	0                               ; 0x0
	.size	__hip_cuid_c32cfb920bd0f25f, 1

	.ident	"AMD clang version 19.0.0git (https://github.com/RadeonOpenCompute/llvm-project roc-6.4.0 25133 c7fe45cf4b819c5991fe208aaa96edf142730f1d)"
	.section	".note.GNU-stack","",@progbits
	.addrsig
	.addrsig_sym __hip_cuid_c32cfb920bd0f25f
	.amdgpu_metadata
---
amdhsa.kernels:
  - .agpr_count:     0
    .args:
      - .actual_access:  read_only
        .address_space:  global
        .offset:         0
        .size:           8
        .value_kind:     global_buffer
      - .offset:         8
        .size:           8
        .value_kind:     by_value
      - .actual_access:  read_only
        .address_space:  global
        .offset:         16
        .size:           8
        .value_kind:     global_buffer
      - .actual_access:  read_only
        .address_space:  global
        .offset:         24
        .size:           8
        .value_kind:     global_buffer
      - .actual_access:  read_only
        .address_space:  global
        .offset:         32
        .size:           8
        .value_kind:     global_buffer
      - .offset:         40
        .size:           8
        .value_kind:     by_value
      - .actual_access:  read_only
        .address_space:  global
        .offset:         48
        .size:           8
        .value_kind:     global_buffer
      - .actual_access:  read_only
        .address_space:  global
        .offset:         56
        .size:           8
        .value_kind:     global_buffer
      - .offset:         64
        .size:           4
        .value_kind:     by_value
      - .actual_access:  read_only
        .address_space:  global
        .offset:         72
        .size:           8
        .value_kind:     global_buffer
      - .actual_access:  read_only
        .address_space:  global
        .offset:         80
        .size:           8
        .value_kind:     global_buffer
      - .actual_access:  read_only
        .address_space:  global
        .offset:         88
        .size:           8
        .value_kind:     global_buffer
      - .actual_access:  write_only
        .address_space:  global
        .offset:         96
        .size:           8
        .value_kind:     global_buffer
    .group_segment_fixed_size: 0
    .kernarg_segment_align: 8
    .kernarg_segment_size: 104
    .language:       OpenCL C
    .language_version:
      - 2
      - 0
    .max_flat_workgroup_size: 216
    .name:           fft_rtc_fwd_len243_factors_3_3_3_3_3_wgs_216_tpt_27_dp_op_CI_CI_sbrc_z_xy_unaligned_dirReg
    .private_segment_fixed_size: 0
    .sgpr_count:     38
    .sgpr_spill_count: 0
    .symbol:         fft_rtc_fwd_len243_factors_3_3_3_3_3_wgs_216_tpt_27_dp_op_CI_CI_sbrc_z_xy_unaligned_dirReg.kd
    .uniform_work_group_size: 1
    .uses_dynamic_stack: false
    .vgpr_count:     69
    .vgpr_spill_count: 0
    .wavefront_size: 64
amdhsa.target:   amdgcn-amd-amdhsa--gfx950
amdhsa.version:
  - 1
  - 2
...

	.end_amdgpu_metadata
